;; amdgpu-corpus repo=ROCm/rocm-examples kind=compiled arch=gfx1201 opt=O3
	.amdgcn_target "amdgcn-amd-amdhsa--gfx1201"
	.amdhsa_code_object_version 6
	.text
	.protected	_Z13divide_kernelPfPKfS1_i ; -- Begin function _Z13divide_kernelPfPKfS1_i
	.globl	_Z13divide_kernelPfPKfS1_i
	.p2align	8
	.type	_Z13divide_kernelPfPKfS1_i,@function
_Z13divide_kernelPfPKfS1_i:             ; @_Z13divide_kernelPfPKfS1_i
; %bb.0:
	s_load_b32 s2, s[0:1], 0x2c
	s_wait_kmcnt 0x0
	s_and_b32 s2, s2, 0xffff
	s_delay_alu instid0(SALU_CYCLE_1)
	v_mad_co_u64_u32 v[0:1], null, ttmp9, s2, v[0:1]
	s_mov_b32 s2, exec_lo
	v_cmpx_gt_i32_e32 0x26000, v0
	s_cbranch_execz .LBB0_2
; %bb.1:
	s_clause 0x1
	s_load_b128 s[4:7], s[0:1], 0x0
	s_load_b64 s[0:1], s[0:1], 0x10
	v_ashrrev_i32_e32 v1, 31, v0
	s_delay_alu instid0(VALU_DEP_1) | instskip(SKIP_1) | instid1(VALU_DEP_1)
	v_lshlrev_b64_e32 v[0:1], 2, v[0:1]
	s_wait_kmcnt 0x0
	v_add_co_u32 v2, vcc_lo, s6, v0
	s_delay_alu instid0(VALU_DEP_1)
	v_add_co_ci_u32_e64 v3, null, s7, v1, vcc_lo
	v_add_co_u32 v4, vcc_lo, s0, v0
	s_wait_alu 0xfffd
	v_add_co_ci_u32_e64 v5, null, s1, v1, vcc_lo
	global_load_b32 v2, v[2:3], off
	global_load_b32 v3, v[4:5], off
	s_wait_loadcnt 0x0
	v_add_f32_e32 v4, v2, v3
	s_delay_alu instid0(VALU_DEP_1) | instskip(NEXT) | instid1(VALU_DEP_1)
	v_dual_sub_f32 v2, v2, v3 :: v_dual_and_b32 v3, 0x7fffffff, v4
	v_div_scale_f32 v5, null, v3, v3, v2
	v_div_scale_f32 v3, vcc_lo, v2, v3, v2
	s_delay_alu instid0(VALU_DEP_2) | instskip(NEXT) | instid1(TRANS32_DEP_1)
	v_rcp_f32_e32 v6, v5
	v_fma_f32 v7, -v5, v6, 1.0
	s_delay_alu instid0(VALU_DEP_1) | instskip(NEXT) | instid1(VALU_DEP_1)
	v_fmac_f32_e32 v6, v7, v6
	v_mul_f32_e32 v7, v3, v6
	s_delay_alu instid0(VALU_DEP_1) | instskip(NEXT) | instid1(VALU_DEP_1)
	v_fma_f32 v8, -v5, v7, v3
	v_fmac_f32_e32 v7, v8, v6
	s_delay_alu instid0(VALU_DEP_1) | instskip(SKIP_1) | instid1(VALU_DEP_1)
	v_fma_f32 v3, -v5, v7, v3
	s_wait_alu 0xfffd
	v_div_fmas_f32 v3, v3, v6, v7
	v_add_co_u32 v0, vcc_lo, s4, v0
	s_wait_alu 0xfffd
	v_add_co_ci_u32_e64 v1, null, s5, v1, vcc_lo
	s_delay_alu instid0(VALU_DEP_3) | instskip(NEXT) | instid1(VALU_DEP_1)
	v_div_fixup_f32 v2, v3, |v4|, v2
	v_add_f32_e32 v2, 1.0, v2
	global_store_b32 v[0:1], v2, off
.LBB0_2:
	s_endpgm
	.section	.rodata,"a",@progbits
	.p2align	6, 0x0
	.amdhsa_kernel _Z13divide_kernelPfPKfS1_i
		.amdhsa_group_segment_fixed_size 0
		.amdhsa_private_segment_fixed_size 0
		.amdhsa_kernarg_size 288
		.amdhsa_user_sgpr_count 2
		.amdhsa_user_sgpr_dispatch_ptr 0
		.amdhsa_user_sgpr_queue_ptr 0
		.amdhsa_user_sgpr_kernarg_segment_ptr 1
		.amdhsa_user_sgpr_dispatch_id 0
		.amdhsa_user_sgpr_private_segment_size 0
		.amdhsa_wavefront_size32 1
		.amdhsa_uses_dynamic_stack 0
		.amdhsa_enable_private_segment 0
		.amdhsa_system_sgpr_workgroup_id_x 1
		.amdhsa_system_sgpr_workgroup_id_y 0
		.amdhsa_system_sgpr_workgroup_id_z 0
		.amdhsa_system_sgpr_workgroup_info 0
		.amdhsa_system_vgpr_workitem_id 0
		.amdhsa_next_free_vgpr 9
		.amdhsa_next_free_sgpr 8
		.amdhsa_reserve_vcc 1
		.amdhsa_float_round_mode_32 0
		.amdhsa_float_round_mode_16_64 0
		.amdhsa_float_denorm_mode_32 3
		.amdhsa_float_denorm_mode_16_64 3
		.amdhsa_fp16_overflow 0
		.amdhsa_workgroup_processor_mode 1
		.amdhsa_memory_ordered 1
		.amdhsa_forward_progress 1
		.amdhsa_inst_pref_size 3
		.amdhsa_round_robin_scheduling 0
		.amdhsa_exception_fp_ieee_invalid_op 0
		.amdhsa_exception_fp_denorm_src 0
		.amdhsa_exception_fp_ieee_div_zero 0
		.amdhsa_exception_fp_ieee_overflow 0
		.amdhsa_exception_fp_ieee_underflow 0
		.amdhsa_exception_fp_ieee_inexact 0
		.amdhsa_exception_int_div_zero 0
	.end_amdhsa_kernel
	.text
.Lfunc_end0:
	.size	_Z13divide_kernelPfPKfS1_i, .Lfunc_end0-_Z13divide_kernelPfPKfS1_i
                                        ; -- End function
	.set _Z13divide_kernelPfPKfS1_i.num_vgpr, 9
	.set _Z13divide_kernelPfPKfS1_i.num_agpr, 0
	.set _Z13divide_kernelPfPKfS1_i.numbered_sgpr, 8
	.set _Z13divide_kernelPfPKfS1_i.num_named_barrier, 0
	.set _Z13divide_kernelPfPKfS1_i.private_seg_size, 0
	.set _Z13divide_kernelPfPKfS1_i.uses_vcc, 1
	.set _Z13divide_kernelPfPKfS1_i.uses_flat_scratch, 0
	.set _Z13divide_kernelPfPKfS1_i.has_dyn_sized_stack, 0
	.set _Z13divide_kernelPfPKfS1_i.has_recursion, 0
	.set _Z13divide_kernelPfPKfS1_i.has_indirect_call, 0
	.section	.AMDGPU.csdata,"",@progbits
; Kernel info:
; codeLenInByte = 308
; TotalNumSgprs: 10
; NumVgprs: 9
; ScratchSize: 0
; MemoryBound: 0
; FloatMode: 240
; IeeeMode: 1
; LDSByteSize: 0 bytes/workgroup (compile time only)
; SGPRBlocks: 0
; VGPRBlocks: 1
; NumSGPRsForWavesPerEU: 10
; NumVGPRsForWavesPerEU: 9
; Occupancy: 16
; WaveLimiterHint : 0
; COMPUTE_PGM_RSRC2:SCRATCH_EN: 0
; COMPUTE_PGM_RSRC2:USER_SGPR: 2
; COMPUTE_PGM_RSRC2:TRAP_HANDLER: 0
; COMPUTE_PGM_RSRC2:TGID_X_EN: 1
; COMPUTE_PGM_RSRC2:TGID_Y_EN: 0
; COMPUTE_PGM_RSRC2:TGID_Z_EN: 0
; COMPUTE_PGM_RSRC2:TIDIG_COMP_CNT: 0
	.text
	.protected	_Z18looping_lds_kernelPfPKfS1_i ; -- Begin function _Z18looping_lds_kernelPfPKfS1_i
	.globl	_Z18looping_lds_kernelPfPKfS1_i
	.p2align	8
	.type	_Z18looping_lds_kernelPfPKfS1_i,@function
_Z18looping_lds_kernelPfPKfS1_i:        ; @_Z18looping_lds_kernelPfPKfS1_i
; %bb.0:
	s_clause 0x2
	s_load_b32 s8, s[0:1], 0x2c
	s_load_b128 s[4:7], s[0:1], 0x0
	s_load_b64 s[2:3], s[0:1], 0x10
	v_lshlrev_b32_e32 v3, 2, v0
	s_wait_kmcnt 0x0
	s_and_b32 s8, s8, 0xffff
	s_delay_alu instid0(SALU_CYCLE_1) | instskip(SKIP_1) | instid1(VALU_DEP_2)
	v_mad_co_u64_u32 v[1:2], null, ttmp9, s8, v[0:1]
	v_mov_b32_e32 v2, 0
	v_cmp_gt_u32_e32 vcc_lo, 0x26000, v1
	s_delay_alu instid0(VALU_DEP_2)
	v_lshlrev_b64_e32 v[1:2], 2, v[1:2]
	s_and_saveexec_b32 s8, vcc_lo
	s_cbranch_execz .LBB1_2
; %bb.1:
	s_delay_alu instid0(VALU_DEP_1) | instskip(NEXT) | instid1(VALU_DEP_1)
	v_add_co_u32 v4, vcc_lo, s6, v1
	v_add_co_ci_u32_e64 v5, null, s7, v2, vcc_lo
	global_load_b32 v4, v[4:5], off
	v_cvt_f32_u32_e32 v5, v0
	s_wait_loadcnt 0x0
	s_delay_alu instid0(VALU_DEP_1)
	v_add_f32_e32 v4, v4, v5
	ds_store_b32 v3, v4
.LBB1_2:
	s_wait_alu 0xfffe
	s_or_b32 exec_lo, exec_lo, s8
	s_load_b32 s0, s[0:1], 0x18
	s_wait_kmcnt 0x0
	s_cmp_lt_i32 s0, 1
	s_cbranch_scc0 .LBB1_4
; %bb.3:
	ds_load_b32 v4, v3
	s_cbranch_execz .LBB1_5
	s_branch .LBB1_6
.LBB1_4:
                                        ; implicit-def: $vgpr4
.LBB1_5:                                ; =>This Inner Loop Header: Depth=1
	s_wait_dscnt 0x0
	v_and_b32_e32 v4, 0x3ff, v0
	s_barrier_signal -1
	s_barrier_wait -1
	global_inv scope:SCOPE_SE
	v_xor_b32_e32 v4, 0x200, v4
	v_add_nc_u32_e32 v0, 1, v0
	s_add_co_i32 s0, s0, -1
	s_wait_alu 0xfffe
	s_cmp_eq_u32 s0, 0
	v_lshlrev_b32_e32 v4, 2, v4
	ds_load_b32 v4, v4
	s_wait_loadcnt_dscnt 0x0
	s_barrier_signal -1
	s_barrier_wait -1
	global_inv scope:SCOPE_SE
	ds_load_b32 v5, v3
	s_wait_dscnt 0x0
	v_add_f32_e32 v4, v4, v5
	ds_store_b32 v3, v4
	s_cbranch_scc0 .LBB1_5
.LBB1_6:
	v_add_co_u32 v5, vcc_lo, s2, v1
	s_wait_alu 0xfffd
	v_add_co_ci_u32_e64 v6, null, s3, v2, vcc_lo
	global_load_b32 v0, v[5:6], off
	s_wait_loadcnt_dscnt 0x0
	v_add_f32_e32 v3, v4, v0
	v_add_co_u32 v0, vcc_lo, s4, v1
	s_wait_alu 0xfffd
	v_add_co_ci_u32_e64 v1, null, s5, v2, vcc_lo
	global_store_b32 v[0:1], v3, off
	s_endpgm
	.section	.rodata,"a",@progbits
	.p2align	6, 0x0
	.amdhsa_kernel _Z18looping_lds_kernelPfPKfS1_i
		.amdhsa_group_segment_fixed_size 4096
		.amdhsa_private_segment_fixed_size 0
		.amdhsa_kernarg_size 288
		.amdhsa_user_sgpr_count 2
		.amdhsa_user_sgpr_dispatch_ptr 0
		.amdhsa_user_sgpr_queue_ptr 0
		.amdhsa_user_sgpr_kernarg_segment_ptr 1
		.amdhsa_user_sgpr_dispatch_id 0
		.amdhsa_user_sgpr_private_segment_size 0
		.amdhsa_wavefront_size32 1
		.amdhsa_uses_dynamic_stack 0
		.amdhsa_enable_private_segment 0
		.amdhsa_system_sgpr_workgroup_id_x 1
		.amdhsa_system_sgpr_workgroup_id_y 0
		.amdhsa_system_sgpr_workgroup_id_z 0
		.amdhsa_system_sgpr_workgroup_info 0
		.amdhsa_system_vgpr_workitem_id 0
		.amdhsa_next_free_vgpr 7
		.amdhsa_next_free_sgpr 9
		.amdhsa_reserve_vcc 1
		.amdhsa_float_round_mode_32 0
		.amdhsa_float_round_mode_16_64 0
		.amdhsa_float_denorm_mode_32 3
		.amdhsa_float_denorm_mode_16_64 3
		.amdhsa_fp16_overflow 0
		.amdhsa_workgroup_processor_mode 1
		.amdhsa_memory_ordered 1
		.amdhsa_forward_progress 1
		.amdhsa_inst_pref_size 3
		.amdhsa_round_robin_scheduling 0
		.amdhsa_exception_fp_ieee_invalid_op 0
		.amdhsa_exception_fp_denorm_src 0
		.amdhsa_exception_fp_ieee_div_zero 0
		.amdhsa_exception_fp_ieee_overflow 0
		.amdhsa_exception_fp_ieee_underflow 0
		.amdhsa_exception_fp_ieee_inexact 0
		.amdhsa_exception_int_div_zero 0
	.end_amdhsa_kernel
	.text
.Lfunc_end1:
	.size	_Z18looping_lds_kernelPfPKfS1_i, .Lfunc_end1-_Z18looping_lds_kernelPfPKfS1_i
                                        ; -- End function
	.set _Z18looping_lds_kernelPfPKfS1_i.num_vgpr, 7
	.set _Z18looping_lds_kernelPfPKfS1_i.num_agpr, 0
	.set _Z18looping_lds_kernelPfPKfS1_i.numbered_sgpr, 9
	.set _Z18looping_lds_kernelPfPKfS1_i.num_named_barrier, 0
	.set _Z18looping_lds_kernelPfPKfS1_i.private_seg_size, 0
	.set _Z18looping_lds_kernelPfPKfS1_i.uses_vcc, 1
	.set _Z18looping_lds_kernelPfPKfS1_i.uses_flat_scratch, 0
	.set _Z18looping_lds_kernelPfPKfS1_i.has_dyn_sized_stack, 0
	.set _Z18looping_lds_kernelPfPKfS1_i.has_recursion, 0
	.set _Z18looping_lds_kernelPfPKfS1_i.has_indirect_call, 0
	.section	.AMDGPU.csdata,"",@progbits
; Kernel info:
; codeLenInByte = 380
; TotalNumSgprs: 11
; NumVgprs: 7
; ScratchSize: 0
; MemoryBound: 0
; FloatMode: 240
; IeeeMode: 1
; LDSByteSize: 4096 bytes/workgroup (compile time only)
; SGPRBlocks: 0
; VGPRBlocks: 0
; NumSGPRsForWavesPerEU: 11
; NumVGPRsForWavesPerEU: 7
; Occupancy: 16
; WaveLimiterHint : 0
; COMPUTE_PGM_RSRC2:SCRATCH_EN: 0
; COMPUTE_PGM_RSRC2:USER_SGPR: 2
; COMPUTE_PGM_RSRC2:TRAP_HANDLER: 0
; COMPUTE_PGM_RSRC2:TGID_X_EN: 1
; COMPUTE_PGM_RSRC2:TGID_Y_EN: 0
; COMPUTE_PGM_RSRC2:TGID_Z_EN: 0
; COMPUTE_PGM_RSRC2:TIDIG_COMP_CNT: 0
	.text
	.protected	_Z11fifo_kernelPfPKfS1_i ; -- Begin function _Z11fifo_kernelPfPKfS1_i
	.globl	_Z11fifo_kernelPfPKfS1_i
	.p2align	8
	.type	_Z11fifo_kernelPfPKfS1_i,@function
_Z11fifo_kernelPfPKfS1_i:               ; @_Z11fifo_kernelPfPKfS1_i
; %bb.0:
	s_load_b32 s0, s[0:1], 0x18
	v_mov_b32_e32 v2, 0
	v_cvt_f32_u32_e32 v1, v0
	s_delay_alu instid0(VALU_DEP_2)
	v_dual_mov_b32 v3, v2 :: v_dual_lshlrev_b32 v0, 4, v0
	v_mov_b32_e32 v4, v2
	ds_store_b128 v0, v[1:4]
	ds_store_b128 v0, v[1:4] offset:8192
	s_wait_dscnt 0x0
	s_barrier_signal -1
	s_barrier_wait -1
	global_inv scope:SCOPE_SE
	s_wait_kmcnt 0x0
	s_cmp_lt_i32 s0, 1
	s_cbranch_scc1 .LBB2_3
; %bb.1:
	v_mov_b32_e32 v1, 0
.LBB2_2:                                ; =>This Inner Loop Header: Depth=1
	ds_load_b128 v[3:6], v0
	ds_load_b128 v[7:10], v0 offset:128
	ds_load_b128 v[11:14], v0 offset:256
	;; [unrolled: 1-line block ×4, first 2 shown]
	s_add_co_i32 s0, s0, -1
	s_delay_alu instid0(SALU_CYCLE_1)
	s_cmp_lg_u32 s0, 0
	s_wait_dscnt 0x4
	v_dual_add_f32 v23, v3, v4 :: v_dual_add_f32 v24, v5, v6
	ds_load_b128 v[3:6], v0 offset:640
	s_wait_dscnt 0x4
	v_dual_add_f32 v25, v7, v8 :: v_dual_add_f32 v26, v9, v10
	v_dual_add_f32 v1, v1, v23 :: v_dual_add_f32 v2, v2, v24
	ds_load_b128 v[7:10], v0 offset:768
	s_wait_dscnt 0x4
	v_dual_add_f32 v23, v11, v12 :: v_dual_add_f32 v24, v13, v14
	;; [unrolled: 4-line block ×4, first 2 shown]
	v_dual_add_f32 v1, v1, v25 :: v_dual_add_f32 v2, v2, v26
	ds_load_b128 v[19:22], v0 offset:1152
	s_wait_dscnt 0x4
	v_add_f32_e32 v25, v3, v4
	v_add_f32_e32 v5, v5, v6
	v_dual_add_f32 v6, v1, v23 :: v_dual_add_f32 v23, v2, v24
	ds_load_b128 v[1:4], v0 offset:1280
	s_wait_dscnt 0x4
	v_dual_add_f32 v24, v7, v8 :: v_dual_add_f32 v9, v9, v10
	s_wait_dscnt 0x3
	v_dual_add_f32 v10, v6, v25 :: v_dual_add_f32 v25, v11, v12
	s_delay_alu instid0(VALU_DEP_1) | instskip(SKIP_3) | instid1(VALU_DEP_2)
	v_dual_add_f32 v13, v13, v14 :: v_dual_add_f32 v14, v10, v24
	s_wait_dscnt 0x2
	v_dual_add_f32 v24, v15, v16 :: v_dual_add_f32 v17, v17, v18
	s_wait_dscnt 0x1
	v_dual_add_f32 v18, v14, v25 :: v_dual_add_f32 v25, v19, v20
	s_delay_alu instid0(VALU_DEP_1)
	v_dual_add_f32 v21, v21, v22 :: v_dual_add_f32 v22, v18, v24
	s_wait_dscnt 0x0
	v_add_f32_e32 v24, v1, v2
	v_add_f32_e32 v26, v3, v4
	;; [unrolled: 1-line block ×3, first 2 shown]
	ds_load_b128 v[1:4], v0 offset:1920
	ds_load_b128 v[5:8], v0 offset:1408
	v_add_f32_e32 v23, v23, v9
	ds_load_b128 v[9:12], v0 offset:1536
	v_add_f32_e32 v22, v22, v25
	v_add_f32_e32 v23, v23, v13
	ds_load_b128 v[13:16], v0 offset:1664
	v_add_f32_e32 v23, v23, v17
	ds_load_b128 v[17:20], v0 offset:1792
	s_wait_loadcnt_dscnt 0x0
	s_barrier_signal -1
	s_barrier_wait -1
	global_inv scope:SCOPE_SE
	v_dual_add_f32 v1, v1, v2 :: v_dual_add_f32 v2, v3, v4
	v_add_f32_e32 v21, v23, v21
	v_dual_add_f32 v5, v5, v6 :: v_dual_add_f32 v6, v7, v8
	v_add_f32_e32 v9, v9, v10
	s_delay_alu instid0(VALU_DEP_3) | instskip(NEXT) | instid1(VALU_DEP_1)
	v_dual_add_f32 v7, v22, v24 :: v_dual_add_f32 v8, v21, v26
	v_add_f32_e32 v5, v7, v5
	v_dual_add_f32 v10, v11, v12 :: v_dual_add_f32 v7, v13, v14
	s_delay_alu instid0(VALU_DEP_3) | instskip(NEXT) | instid1(VALU_DEP_3)
	v_add_f32_e32 v6, v8, v6
	v_dual_add_f32 v8, v15, v16 :: v_dual_add_f32 v5, v5, v9
	v_add_f32_e32 v9, v17, v18
	s_delay_alu instid0(VALU_DEP_3) | instskip(NEXT) | instid1(VALU_DEP_3)
	v_add_f32_e32 v6, v6, v10
	v_dual_add_f32 v10, v19, v20 :: v_dual_add_f32 v5, v5, v7
	s_delay_alu instid0(VALU_DEP_1) | instskip(NEXT) | instid1(VALU_DEP_1)
	v_dual_add_f32 v6, v6, v8 :: v_dual_add_f32 v3, v5, v9
	v_dual_add_f32 v4, v6, v10 :: v_dual_add_f32 v1, v3, v1
	s_delay_alu instid0(VALU_DEP_1)
	v_add_f32_e32 v2, v4, v2
	;;#ASMSTART
	v_add_f32 v1, v1, v2
	;;#ASMEND
	s_cbranch_scc1 .LBB2_2
.LBB2_3:
	s_endpgm
	.section	.rodata,"a",@progbits
	.p2align	6, 0x0
	.amdhsa_kernel _Z11fifo_kernelPfPKfS1_i
		.amdhsa_group_segment_fixed_size 16384
		.amdhsa_private_segment_fixed_size 0
		.amdhsa_kernarg_size 28
		.amdhsa_user_sgpr_count 2
		.amdhsa_user_sgpr_dispatch_ptr 0
		.amdhsa_user_sgpr_queue_ptr 0
		.amdhsa_user_sgpr_kernarg_segment_ptr 1
		.amdhsa_user_sgpr_dispatch_id 0
		.amdhsa_user_sgpr_private_segment_size 0
		.amdhsa_wavefront_size32 1
		.amdhsa_uses_dynamic_stack 0
		.amdhsa_enable_private_segment 0
		.amdhsa_system_sgpr_workgroup_id_x 1
		.amdhsa_system_sgpr_workgroup_id_y 0
		.amdhsa_system_sgpr_workgroup_id_z 0
		.amdhsa_system_sgpr_workgroup_info 0
		.amdhsa_system_vgpr_workitem_id 0
		.amdhsa_next_free_vgpr 27
		.amdhsa_next_free_sgpr 2
		.amdhsa_reserve_vcc 0
		.amdhsa_float_round_mode_32 0
		.amdhsa_float_round_mode_16_64 0
		.amdhsa_float_denorm_mode_32 3
		.amdhsa_float_denorm_mode_16_64 3
		.amdhsa_fp16_overflow 0
		.amdhsa_workgroup_processor_mode 1
		.amdhsa_memory_ordered 1
		.amdhsa_forward_progress 1
		.amdhsa_inst_pref_size 5
		.amdhsa_round_robin_scheduling 0
		.amdhsa_exception_fp_ieee_invalid_op 0
		.amdhsa_exception_fp_denorm_src 0
		.amdhsa_exception_fp_ieee_div_zero 0
		.amdhsa_exception_fp_ieee_overflow 0
		.amdhsa_exception_fp_ieee_underflow 0
		.amdhsa_exception_fp_ieee_inexact 0
		.amdhsa_exception_int_div_zero 0
	.end_amdhsa_kernel
	.text
.Lfunc_end2:
	.size	_Z11fifo_kernelPfPKfS1_i, .Lfunc_end2-_Z11fifo_kernelPfPKfS1_i
                                        ; -- End function
	.set _Z11fifo_kernelPfPKfS1_i.num_vgpr, 27
	.set _Z11fifo_kernelPfPKfS1_i.num_agpr, 0
	.set _Z11fifo_kernelPfPKfS1_i.numbered_sgpr, 2
	.set _Z11fifo_kernelPfPKfS1_i.num_named_barrier, 0
	.set _Z11fifo_kernelPfPKfS1_i.private_seg_size, 0
	.set _Z11fifo_kernelPfPKfS1_i.uses_vcc, 0
	.set _Z11fifo_kernelPfPKfS1_i.uses_flat_scratch, 0
	.set _Z11fifo_kernelPfPKfS1_i.has_dyn_sized_stack, 0
	.set _Z11fifo_kernelPfPKfS1_i.has_recursion, 0
	.set _Z11fifo_kernelPfPKfS1_i.has_indirect_call, 0
	.section	.AMDGPU.csdata,"",@progbits
; Kernel info:
; codeLenInByte = 588
; TotalNumSgprs: 2
; NumVgprs: 27
; ScratchSize: 0
; MemoryBound: 0
; FloatMode: 240
; IeeeMode: 1
; LDSByteSize: 16384 bytes/workgroup (compile time only)
; SGPRBlocks: 0
; VGPRBlocks: 3
; NumSGPRsForWavesPerEU: 2
; NumVGPRsForWavesPerEU: 27
; Occupancy: 16
; WaveLimiterHint : 0
; COMPUTE_PGM_RSRC2:SCRATCH_EN: 0
; COMPUTE_PGM_RSRC2:USER_SGPR: 2
; COMPUTE_PGM_RSRC2:TRAP_HANDLER: 0
; COMPUTE_PGM_RSRC2:TGID_X_EN: 1
; COMPUTE_PGM_RSRC2:TGID_Y_EN: 0
; COMPUTE_PGM_RSRC2:TGID_Z_EN: 0
; COMPUTE_PGM_RSRC2:TIDIG_COMP_CNT: 0
	.text
	.p2alignl 7, 3214868480
	.fill 96, 4, 3214868480
	.section	.AMDGPU.gpr_maximums,"",@progbits
	.set amdgpu.max_num_vgpr, 0
	.set amdgpu.max_num_agpr, 0
	.set amdgpu.max_num_sgpr, 0
	.text
	.type	__hip_cuid_8b88bbc0c59dcd9d,@object ; @__hip_cuid_8b88bbc0c59dcd9d
	.section	.bss,"aw",@nobits
	.globl	__hip_cuid_8b88bbc0c59dcd9d
__hip_cuid_8b88bbc0c59dcd9d:
	.byte	0                               ; 0x0
	.size	__hip_cuid_8b88bbc0c59dcd9d, 1

	.ident	"AMD clang version 22.0.0git (https://github.com/RadeonOpenCompute/llvm-project roc-7.2.4 26084 f58b06dce1f9c15707c5f808fd002e18c2accf7e)"
	.section	".note.GNU-stack","",@progbits
	.addrsig
	.addrsig_sym __hip_cuid_8b88bbc0c59dcd9d
	.amdgpu_metadata
---
amdhsa.kernels:
  - .args:
      - .address_space:  global
        .offset:         0
        .size:           8
        .value_kind:     global_buffer
      - .address_space:  global
        .offset:         8
        .size:           8
        .value_kind:     global_buffer
      - .address_space:  global
        .offset:         16
        .size:           8
        .value_kind:     global_buffer
      - .offset:         24
        .size:           4
        .value_kind:     by_value
      - .offset:         32
        .size:           4
        .value_kind:     hidden_block_count_x
      - .offset:         36
        .size:           4
        .value_kind:     hidden_block_count_y
      - .offset:         40
        .size:           4
        .value_kind:     hidden_block_count_z
      - .offset:         44
        .size:           2
        .value_kind:     hidden_group_size_x
      - .offset:         46
        .size:           2
        .value_kind:     hidden_group_size_y
      - .offset:         48
        .size:           2
        .value_kind:     hidden_group_size_z
      - .offset:         50
        .size:           2
        .value_kind:     hidden_remainder_x
      - .offset:         52
        .size:           2
        .value_kind:     hidden_remainder_y
      - .offset:         54
        .size:           2
        .value_kind:     hidden_remainder_z
      - .offset:         72
        .size:           8
        .value_kind:     hidden_global_offset_x
      - .offset:         80
        .size:           8
        .value_kind:     hidden_global_offset_y
      - .offset:         88
        .size:           8
        .value_kind:     hidden_global_offset_z
      - .offset:         96
        .size:           2
        .value_kind:     hidden_grid_dims
    .group_segment_fixed_size: 0
    .kernarg_segment_align: 8
    .kernarg_segment_size: 288
    .language:       OpenCL C
    .language_version:
      - 2
      - 0
    .max_flat_workgroup_size: 1024
    .name:           _Z13divide_kernelPfPKfS1_i
    .private_segment_fixed_size: 0
    .sgpr_count:     10
    .sgpr_spill_count: 0
    .symbol:         _Z13divide_kernelPfPKfS1_i.kd
    .uniform_work_group_size: 1
    .uses_dynamic_stack: false
    .vgpr_count:     9
    .vgpr_spill_count: 0
    .wavefront_size: 32
    .workgroup_processor_mode: 1
  - .args:
      - .address_space:  global
        .offset:         0
        .size:           8
        .value_kind:     global_buffer
      - .address_space:  global
        .offset:         8
        .size:           8
        .value_kind:     global_buffer
      - .address_space:  global
        .offset:         16
        .size:           8
        .value_kind:     global_buffer
      - .offset:         24
        .size:           4
        .value_kind:     by_value
      - .offset:         32
        .size:           4
        .value_kind:     hidden_block_count_x
      - .offset:         36
        .size:           4
        .value_kind:     hidden_block_count_y
      - .offset:         40
        .size:           4
        .value_kind:     hidden_block_count_z
      - .offset:         44
        .size:           2
        .value_kind:     hidden_group_size_x
      - .offset:         46
        .size:           2
        .value_kind:     hidden_group_size_y
      - .offset:         48
        .size:           2
        .value_kind:     hidden_group_size_z
      - .offset:         50
        .size:           2
        .value_kind:     hidden_remainder_x
      - .offset:         52
        .size:           2
        .value_kind:     hidden_remainder_y
      - .offset:         54
        .size:           2
        .value_kind:     hidden_remainder_z
      - .offset:         72
        .size:           8
        .value_kind:     hidden_global_offset_x
      - .offset:         80
        .size:           8
        .value_kind:     hidden_global_offset_y
      - .offset:         88
        .size:           8
        .value_kind:     hidden_global_offset_z
      - .offset:         96
        .size:           2
        .value_kind:     hidden_grid_dims
    .group_segment_fixed_size: 4096
    .kernarg_segment_align: 8
    .kernarg_segment_size: 288
    .language:       OpenCL C
    .language_version:
      - 2
      - 0
    .max_flat_workgroup_size: 1024
    .name:           _Z18looping_lds_kernelPfPKfS1_i
    .private_segment_fixed_size: 0
    .sgpr_count:     11
    .sgpr_spill_count: 0
    .symbol:         _Z18looping_lds_kernelPfPKfS1_i.kd
    .uniform_work_group_size: 1
    .uses_dynamic_stack: false
    .vgpr_count:     7
    .vgpr_spill_count: 0
    .wavefront_size: 32
    .workgroup_processor_mode: 1
  - .args:
      - .address_space:  global
        .offset:         0
        .size:           8
        .value_kind:     global_buffer
      - .address_space:  global
        .offset:         8
        .size:           8
        .value_kind:     global_buffer
      - .address_space:  global
        .offset:         16
        .size:           8
        .value_kind:     global_buffer
      - .offset:         24
        .size:           4
        .value_kind:     by_value
    .group_segment_fixed_size: 16384
    .kernarg_segment_align: 8
    .kernarg_segment_size: 28
    .language:       OpenCL C
    .language_version:
      - 2
      - 0
    .max_flat_workgroup_size: 1024
    .name:           _Z11fifo_kernelPfPKfS1_i
    .private_segment_fixed_size: 0
    .sgpr_count:     2
    .sgpr_spill_count: 0
    .symbol:         _Z11fifo_kernelPfPKfS1_i.kd
    .uniform_work_group_size: 1
    .uses_dynamic_stack: false
    .vgpr_count:     27
    .vgpr_spill_count: 0
    .wavefront_size: 32
    .workgroup_processor_mode: 1
amdhsa.target:   amdgcn-amd-amdhsa--gfx1201
amdhsa.version:
  - 1
  - 2
...

	.end_amdgpu_metadata
